;; amdgpu-corpus repo=ROCm/rocFFT kind=compiled arch=gfx1201 opt=O3
	.text
	.amdgcn_target "amdgcn-amd-amdhsa--gfx1201"
	.amdhsa_code_object_version 6
	.protected	fft_rtc_fwd_len198_factors_11_2_9_wgs_110_tpt_22_dp_ip_CI_sbrr_dirReg ; -- Begin function fft_rtc_fwd_len198_factors_11_2_9_wgs_110_tpt_22_dp_ip_CI_sbrr_dirReg
	.globl	fft_rtc_fwd_len198_factors_11_2_9_wgs_110_tpt_22_dp_ip_CI_sbrr_dirReg
	.p2align	8
	.type	fft_rtc_fwd_len198_factors_11_2_9_wgs_110_tpt_22_dp_ip_CI_sbrr_dirReg,@function
fft_rtc_fwd_len198_factors_11_2_9_wgs_110_tpt_22_dp_ip_CI_sbrr_dirReg: ; @fft_rtc_fwd_len198_factors_11_2_9_wgs_110_tpt_22_dp_ip_CI_sbrr_dirReg
; %bb.0:
	s_clause 0x1
	s_load_b64 s[12:13], s[0:1], 0x18
	s_load_b128 s[4:7], s[0:1], 0x0
	v_mul_u32_u24_e32 v1, 0xba3, v0
	v_mov_b32_e32 v3, 0
	s_load_b64 s[10:11], s[0:1], 0x50
	s_wait_kmcnt 0x0
	s_load_b64 s[8:9], s[12:13], 0x0
	v_lshrrev_b32_e32 v1, 16, v1
	v_cmp_lt_u64_e64 s2, s[6:7], 2
	s_delay_alu instid0(VALU_DEP_2) | instskip(SKIP_2) | instid1(VALU_DEP_4)
	v_mad_co_u64_u32 v[54:55], null, ttmp9, 5, v[1:2]
	v_mov_b32_e32 v1, 0
	v_dual_mov_b32 v2, 0 :: v_dual_mov_b32 v55, v3
	s_and_b32 vcc_lo, exec_lo, s2
	s_delay_alu instid0(VALU_DEP_1)
	v_dual_mov_b32 v7, v54 :: v_dual_mov_b32 v8, v55
	s_cbranch_vccnz .LBB0_8
; %bb.1:
	s_load_b64 s[2:3], s[0:1], 0x10
	v_mov_b32_e32 v1, 0
	v_dual_mov_b32 v2, 0 :: v_dual_mov_b32 v5, v54
	v_mov_b32_e32 v6, v55
	s_add_nc_u64 s[14:15], s[12:13], 8
	s_mov_b64 s[16:17], 1
	s_wait_kmcnt 0x0
	s_add_nc_u64 s[18:19], s[2:3], 8
	s_mov_b32 s3, 0
.LBB0_2:                                ; =>This Inner Loop Header: Depth=1
	s_load_b64 s[20:21], s[18:19], 0x0
                                        ; implicit-def: $vgpr7_vgpr8
	s_mov_b32 s2, exec_lo
	s_wait_kmcnt 0x0
	v_or_b32_e32 v4, s21, v6
	s_delay_alu instid0(VALU_DEP_1)
	v_cmpx_ne_u64_e32 0, v[3:4]
	s_wait_alu 0xfffe
	s_xor_b32 s22, exec_lo, s2
	s_cbranch_execz .LBB0_4
; %bb.3:                                ;   in Loop: Header=BB0_2 Depth=1
	s_cvt_f32_u32 s2, s20
	s_cvt_f32_u32 s23, s21
	s_sub_nc_u64 s[26:27], 0, s[20:21]
	s_wait_alu 0xfffe
	s_delay_alu instid0(SALU_CYCLE_1) | instskip(SKIP_1) | instid1(SALU_CYCLE_2)
	s_fmamk_f32 s2, s23, 0x4f800000, s2
	s_wait_alu 0xfffe
	v_s_rcp_f32 s2, s2
	s_delay_alu instid0(TRANS32_DEP_1) | instskip(SKIP_1) | instid1(SALU_CYCLE_2)
	s_mul_f32 s2, s2, 0x5f7ffffc
	s_wait_alu 0xfffe
	s_mul_f32 s23, s2, 0x2f800000
	s_wait_alu 0xfffe
	s_delay_alu instid0(SALU_CYCLE_2) | instskip(SKIP_1) | instid1(SALU_CYCLE_2)
	s_trunc_f32 s23, s23
	s_wait_alu 0xfffe
	s_fmamk_f32 s2, s23, 0xcf800000, s2
	s_cvt_u32_f32 s25, s23
	s_wait_alu 0xfffe
	s_delay_alu instid0(SALU_CYCLE_1) | instskip(SKIP_1) | instid1(SALU_CYCLE_2)
	s_cvt_u32_f32 s24, s2
	s_wait_alu 0xfffe
	s_mul_u64 s[28:29], s[26:27], s[24:25]
	s_wait_alu 0xfffe
	s_mul_hi_u32 s31, s24, s29
	s_mul_i32 s30, s24, s29
	s_mul_hi_u32 s2, s24, s28
	s_mul_i32 s33, s25, s28
	s_wait_alu 0xfffe
	s_add_nc_u64 s[30:31], s[2:3], s[30:31]
	s_mul_hi_u32 s23, s25, s28
	s_mul_hi_u32 s34, s25, s29
	s_add_co_u32 s2, s30, s33
	s_wait_alu 0xfffe
	s_add_co_ci_u32 s2, s31, s23
	s_mul_i32 s28, s25, s29
	s_add_co_ci_u32 s29, s34, 0
	s_wait_alu 0xfffe
	s_add_nc_u64 s[28:29], s[2:3], s[28:29]
	s_wait_alu 0xfffe
	v_add_co_u32 v4, s2, s24, s28
	s_delay_alu instid0(VALU_DEP_1) | instskip(SKIP_1) | instid1(VALU_DEP_1)
	s_cmp_lg_u32 s2, 0
	s_add_co_ci_u32 s25, s25, s29
	v_readfirstlane_b32 s24, v4
	s_wait_alu 0xfffe
	s_delay_alu instid0(VALU_DEP_1)
	s_mul_u64 s[26:27], s[26:27], s[24:25]
	s_wait_alu 0xfffe
	s_mul_hi_u32 s29, s24, s27
	s_mul_i32 s28, s24, s27
	s_mul_hi_u32 s2, s24, s26
	s_mul_i32 s30, s25, s26
	s_wait_alu 0xfffe
	s_add_nc_u64 s[28:29], s[2:3], s[28:29]
	s_mul_hi_u32 s23, s25, s26
	s_mul_hi_u32 s24, s25, s27
	s_wait_alu 0xfffe
	s_add_co_u32 s2, s28, s30
	s_add_co_ci_u32 s2, s29, s23
	s_mul_i32 s26, s25, s27
	s_add_co_ci_u32 s27, s24, 0
	s_wait_alu 0xfffe
	s_add_nc_u64 s[26:27], s[2:3], s[26:27]
	s_wait_alu 0xfffe
	v_add_co_u32 v4, s2, v4, s26
	s_delay_alu instid0(VALU_DEP_1) | instskip(SKIP_1) | instid1(VALU_DEP_1)
	s_cmp_lg_u32 s2, 0
	s_add_co_ci_u32 s2, s25, s27
	v_mul_hi_u32 v13, v5, v4
	s_wait_alu 0xfffe
	v_mad_co_u64_u32 v[7:8], null, v5, s2, 0
	v_mad_co_u64_u32 v[9:10], null, v6, v4, 0
	;; [unrolled: 1-line block ×3, first 2 shown]
	s_delay_alu instid0(VALU_DEP_3) | instskip(SKIP_1) | instid1(VALU_DEP_4)
	v_add_co_u32 v4, vcc_lo, v13, v7
	s_wait_alu 0xfffd
	v_add_co_ci_u32_e32 v7, vcc_lo, 0, v8, vcc_lo
	s_delay_alu instid0(VALU_DEP_2) | instskip(SKIP_1) | instid1(VALU_DEP_2)
	v_add_co_u32 v4, vcc_lo, v4, v9
	s_wait_alu 0xfffd
	v_add_co_ci_u32_e32 v4, vcc_lo, v7, v10, vcc_lo
	s_wait_alu 0xfffd
	v_add_co_ci_u32_e32 v7, vcc_lo, 0, v12, vcc_lo
	s_delay_alu instid0(VALU_DEP_2) | instskip(SKIP_1) | instid1(VALU_DEP_2)
	v_add_co_u32 v4, vcc_lo, v4, v11
	s_wait_alu 0xfffd
	v_add_co_ci_u32_e32 v9, vcc_lo, 0, v7, vcc_lo
	s_delay_alu instid0(VALU_DEP_2) | instskip(SKIP_1) | instid1(VALU_DEP_3)
	v_mul_lo_u32 v10, s21, v4
	v_mad_co_u64_u32 v[7:8], null, s20, v4, 0
	v_mul_lo_u32 v11, s20, v9
	s_delay_alu instid0(VALU_DEP_2) | instskip(NEXT) | instid1(VALU_DEP_2)
	v_sub_co_u32 v7, vcc_lo, v5, v7
	v_add3_u32 v8, v8, v11, v10
	s_delay_alu instid0(VALU_DEP_1) | instskip(SKIP_1) | instid1(VALU_DEP_1)
	v_sub_nc_u32_e32 v10, v6, v8
	s_wait_alu 0xfffd
	v_subrev_co_ci_u32_e64 v10, s2, s21, v10, vcc_lo
	v_add_co_u32 v11, s2, v4, 2
	s_wait_alu 0xf1ff
	v_add_co_ci_u32_e64 v12, s2, 0, v9, s2
	v_sub_co_u32 v13, s2, v7, s20
	v_sub_co_ci_u32_e32 v8, vcc_lo, v6, v8, vcc_lo
	s_wait_alu 0xf1ff
	v_subrev_co_ci_u32_e64 v10, s2, 0, v10, s2
	s_delay_alu instid0(VALU_DEP_3) | instskip(NEXT) | instid1(VALU_DEP_3)
	v_cmp_le_u32_e32 vcc_lo, s20, v13
	v_cmp_eq_u32_e64 s2, s21, v8
	s_wait_alu 0xfffd
	v_cndmask_b32_e64 v13, 0, -1, vcc_lo
	v_cmp_le_u32_e32 vcc_lo, s21, v10
	s_wait_alu 0xfffd
	v_cndmask_b32_e64 v14, 0, -1, vcc_lo
	v_cmp_le_u32_e32 vcc_lo, s20, v7
	;; [unrolled: 3-line block ×3, first 2 shown]
	s_wait_alu 0xfffd
	v_cndmask_b32_e64 v15, 0, -1, vcc_lo
	v_cmp_eq_u32_e32 vcc_lo, s21, v10
	s_wait_alu 0xf1ff
	s_delay_alu instid0(VALU_DEP_2)
	v_cndmask_b32_e64 v7, v15, v7, s2
	s_wait_alu 0xfffd
	v_cndmask_b32_e32 v10, v14, v13, vcc_lo
	v_add_co_u32 v13, vcc_lo, v4, 1
	s_wait_alu 0xfffd
	v_add_co_ci_u32_e32 v14, vcc_lo, 0, v9, vcc_lo
	s_delay_alu instid0(VALU_DEP_3) | instskip(SKIP_2) | instid1(VALU_DEP_3)
	v_cmp_ne_u32_e32 vcc_lo, 0, v10
	s_wait_alu 0xfffd
	v_cndmask_b32_e32 v10, v13, v11, vcc_lo
	v_cndmask_b32_e32 v8, v14, v12, vcc_lo
	v_cmp_ne_u32_e32 vcc_lo, 0, v7
	s_wait_alu 0xfffd
	s_delay_alu instid0(VALU_DEP_2)
	v_dual_cndmask_b32 v7, v4, v10 :: v_dual_cndmask_b32 v8, v9, v8
.LBB0_4:                                ;   in Loop: Header=BB0_2 Depth=1
	s_wait_alu 0xfffe
	s_and_not1_saveexec_b32 s2, s22
	s_cbranch_execz .LBB0_6
; %bb.5:                                ;   in Loop: Header=BB0_2 Depth=1
	v_cvt_f32_u32_e32 v4, s20
	s_sub_co_i32 s22, 0, s20
	s_delay_alu instid0(VALU_DEP_1) | instskip(NEXT) | instid1(TRANS32_DEP_1)
	v_rcp_iflag_f32_e32 v4, v4
	v_mul_f32_e32 v4, 0x4f7ffffe, v4
	s_delay_alu instid0(VALU_DEP_1) | instskip(SKIP_1) | instid1(VALU_DEP_1)
	v_cvt_u32_f32_e32 v4, v4
	s_wait_alu 0xfffe
	v_mul_lo_u32 v7, s22, v4
	s_delay_alu instid0(VALU_DEP_1) | instskip(NEXT) | instid1(VALU_DEP_1)
	v_mul_hi_u32 v7, v4, v7
	v_add_nc_u32_e32 v4, v4, v7
	s_delay_alu instid0(VALU_DEP_1) | instskip(NEXT) | instid1(VALU_DEP_1)
	v_mul_hi_u32 v4, v5, v4
	v_mul_lo_u32 v7, v4, s20
	v_add_nc_u32_e32 v8, 1, v4
	s_delay_alu instid0(VALU_DEP_2) | instskip(NEXT) | instid1(VALU_DEP_1)
	v_sub_nc_u32_e32 v7, v5, v7
	v_subrev_nc_u32_e32 v9, s20, v7
	v_cmp_le_u32_e32 vcc_lo, s20, v7
	s_wait_alu 0xfffd
	s_delay_alu instid0(VALU_DEP_2) | instskip(NEXT) | instid1(VALU_DEP_1)
	v_dual_cndmask_b32 v7, v7, v9 :: v_dual_cndmask_b32 v4, v4, v8
	v_cmp_le_u32_e32 vcc_lo, s20, v7
	s_delay_alu instid0(VALU_DEP_2) | instskip(SKIP_1) | instid1(VALU_DEP_1)
	v_add_nc_u32_e32 v8, 1, v4
	s_wait_alu 0xfffd
	v_dual_cndmask_b32 v7, v4, v8 :: v_dual_mov_b32 v8, v3
.LBB0_6:                                ;   in Loop: Header=BB0_2 Depth=1
	s_wait_alu 0xfffe
	s_or_b32 exec_lo, exec_lo, s2
	s_load_b64 s[22:23], s[14:15], 0x0
	s_delay_alu instid0(VALU_DEP_1)
	v_mul_lo_u32 v4, v8, s20
	v_mul_lo_u32 v11, v7, s21
	v_mad_co_u64_u32 v[9:10], null, v7, s20, 0
	s_add_nc_u64 s[16:17], s[16:17], 1
	s_add_nc_u64 s[14:15], s[14:15], 8
	s_wait_alu 0xfffe
	v_cmp_ge_u64_e64 s2, s[16:17], s[6:7]
	s_add_nc_u64 s[18:19], s[18:19], 8
	s_delay_alu instid0(VALU_DEP_2) | instskip(NEXT) | instid1(VALU_DEP_3)
	v_add3_u32 v4, v10, v11, v4
	v_sub_co_u32 v5, vcc_lo, v5, v9
	s_wait_alu 0xfffd
	s_delay_alu instid0(VALU_DEP_2) | instskip(SKIP_3) | instid1(VALU_DEP_2)
	v_sub_co_ci_u32_e32 v4, vcc_lo, v6, v4, vcc_lo
	s_and_b32 vcc_lo, exec_lo, s2
	s_wait_kmcnt 0x0
	v_mul_lo_u32 v6, s23, v5
	v_mul_lo_u32 v4, s22, v4
	v_mad_co_u64_u32 v[1:2], null, s22, v5, v[1:2]
	s_delay_alu instid0(VALU_DEP_1)
	v_add3_u32 v2, v6, v2, v4
	s_wait_alu 0xfffe
	s_cbranch_vccnz .LBB0_8
; %bb.7:                                ;   in Loop: Header=BB0_2 Depth=1
	v_dual_mov_b32 v5, v7 :: v_dual_mov_b32 v6, v8
	s_branch .LBB0_2
.LBB0_8:
	s_lshl_b64 s[2:3], s[6:7], 3
	v_mul_hi_u32 v3, 0xba2e8bb, v0
	s_wait_alu 0xfffe
	s_add_nc_u64 s[2:3], s[12:13], s[2:3]
	v_mov_b32_e32 v135, 0
	s_load_b64 s[2:3], s[2:3], 0x0
	s_load_b64 s[0:1], s[0:1], 0x20
                                        ; implicit-def: $vgpr10_vgpr11
                                        ; implicit-def: $vgpr18_vgpr19
                                        ; implicit-def: $vgpr22_vgpr23
                                        ; implicit-def: $vgpr26_vgpr27
                                        ; implicit-def: $vgpr30_vgpr31
                                        ; implicit-def: $vgpr38_vgpr39
                                        ; implicit-def: $vgpr50_vgpr51
                                        ; implicit-def: $vgpr42_vgpr43
                                        ; implicit-def: $vgpr46_vgpr47
                                        ; implicit-def: $vgpr34_vgpr35
                                        ; implicit-def: $vgpr14_vgpr15
	s_wait_kmcnt 0x0
	v_mul_lo_u32 v4, s2, v8
	v_mul_lo_u32 v5, s3, v7
	v_mad_co_u64_u32 v[52:53], null, s2, v7, v[1:2]
	v_mul_u32_u24_e32 v1, 22, v3
	v_cmp_gt_u64_e32 vcc_lo, s[0:1], v[7:8]
	s_delay_alu instid0(VALU_DEP_2) | instskip(NEXT) | instid1(VALU_DEP_4)
	v_sub_nc_u32_e32 v136, v0, v1
	v_add3_u32 v53, v5, v53, v4
	s_and_saveexec_b32 s1, vcc_lo
	s_cbranch_execz .LBB0_12
; %bb.9:
	s_mov_b32 s2, exec_lo
                                        ; implicit-def: $vgpr12_vgpr13
                                        ; implicit-def: $vgpr32_vgpr33
                                        ; implicit-def: $vgpr44_vgpr45
                                        ; implicit-def: $vgpr40_vgpr41
                                        ; implicit-def: $vgpr48_vgpr49
                                        ; implicit-def: $vgpr36_vgpr37
                                        ; implicit-def: $vgpr28_vgpr29
                                        ; implicit-def: $vgpr24_vgpr25
                                        ; implicit-def: $vgpr20_vgpr21
                                        ; implicit-def: $vgpr16_vgpr17
                                        ; implicit-def: $vgpr8_vgpr9
	v_cmpx_gt_u32_e32 18, v136
	s_cbranch_execz .LBB0_11
; %bb.10:
	v_add_nc_u32_e32 v7, 18, v136
	v_mad_co_u64_u32 v[0:1], null, s8, v136, 0
	v_add_nc_u32_e32 v13, 54, v136
	v_add_nc_u32_e32 v19, 0x5a, v136
	s_delay_alu instid0(VALU_DEP_4) | instskip(SKIP_1) | instid1(VALU_DEP_4)
	v_mad_co_u64_u32 v[2:3], null, s8, v7, 0
	v_add_nc_u32_e32 v23, 0xa2, v136
	v_mad_co_u64_u32 v[10:11], null, s8, v13, 0
	s_delay_alu instid0(VALU_DEP_4)
	v_mad_co_u64_u32 v[16:17], null, s8, v19, 0
	v_add_nc_u32_e32 v12, 36, v136
	v_mad_co_u64_u32 v[4:5], null, s9, v136, v[1:2]
	v_mov_b32_e32 v1, v3
	v_lshlrev_b64_e32 v[5:6], 4, v[52:53]
	v_add_nc_u32_e32 v18, 0x48, v136
	v_add_nc_u32_e32 v22, 0x90, v136
	;; [unrolled: 1-line block ×3, first 2 shown]
	v_mad_co_u64_u32 v[7:8], null, s9, v7, v[1:2]
	v_mov_b32_e32 v1, v4
	v_mad_co_u64_u32 v[8:9], null, s8, v12, 0
	v_add_co_u32 v20, s0, s10, v5
	s_wait_alu 0xf1ff
	v_add_co_ci_u32_e64 v21, s0, s11, v6, s0
	v_mov_b32_e32 v3, v7
	v_mad_co_u64_u32 v[6:7], null, s8, v18, 0
	v_mov_b32_e32 v4, v9
	v_lshlrev_b64_e32 v[0:1], 4, v[0:1]
	s_delay_alu instid0(VALU_DEP_4) | instskip(NEXT) | instid1(VALU_DEP_3)
	v_lshlrev_b64_e32 v[2:3], 4, v[2:3]
	v_mad_co_u64_u32 v[4:5], null, s9, v12, v[4:5]
	v_mov_b32_e32 v5, v11
	s_delay_alu instid0(VALU_DEP_4)
	v_add_co_u32 v0, s0, v20, v0
	s_wait_alu 0xf1ff
	v_add_co_ci_u32_e64 v1, s0, v21, v1, s0
	v_add_co_u32 v2, s0, v20, v2
	v_mov_b32_e32 v9, v4
	v_mad_co_u64_u32 v[4:5], null, s9, v13, v[5:6]
	v_mov_b32_e32 v5, v7
	s_wait_alu 0xf1ff
	v_add_co_ci_u32_e64 v3, s0, v21, v3, s0
	s_clause 0x1
	global_load_b128 v[12:15], v[0:1], off
	global_load_b128 v[32:35], v[2:3], off
	v_mov_b32_e32 v11, v4
	v_mad_co_u64_u32 v[2:3], null, s9, v18, v[5:6]
	v_lshlrev_b64_e32 v[0:1], 4, v[8:9]
	v_mov_b32_e32 v3, v17
	s_delay_alu instid0(VALU_DEP_4)
	v_lshlrev_b64_e32 v[4:5], 4, v[10:11]
	v_add_nc_u32_e32 v9, 0x6c, v136
	v_add_nc_u32_e32 v11, 0x7e, v136
	v_mov_b32_e32 v7, v2
	v_add_co_u32 v0, s0, v20, v0
	v_mad_co_u64_u32 v[2:3], null, s9, v19, v[3:4]
	s_wait_alu 0xf1ff
	v_add_co_ci_u32_e64 v1, s0, v21, v1, s0
	v_add_co_u32 v3, s0, v20, v4
	s_wait_alu 0xf1ff
	v_add_co_ci_u32_e64 v4, s0, v21, v5, s0
	v_lshlrev_b64_e32 v[5:6], 4, v[6:7]
	v_mad_co_u64_u32 v[7:8], null, s8, v9, 0
	v_mov_b32_e32 v17, v2
	s_clause 0x1
	global_load_b128 v[44:47], v[0:1], off
	global_load_b128 v[40:43], v[3:4], off
	v_mad_co_u64_u32 v[18:19], null, s8, v23, 0
	v_add_co_u32 v0, s0, v20, v5
	v_lshlrev_b64_e32 v[3:4], 4, v[16:17]
	v_mov_b32_e32 v2, v8
	s_wait_alu 0xf1ff
	v_add_co_ci_u32_e64 v1, s0, v21, v6, s0
	v_mad_co_u64_u32 v[16:17], null, s8, v22, 0
	s_delay_alu instid0(VALU_DEP_3) | instskip(SKIP_4) | instid1(VALU_DEP_4)
	v_mad_co_u64_u32 v[5:6], null, s9, v9, v[2:3]
	v_mad_co_u64_u32 v[9:10], null, s8, v11, 0
	v_add_co_u32 v2, s0, v20, v3
	s_wait_alu 0xf1ff
	v_add_co_ci_u32_e64 v3, s0, v21, v4, s0
	v_dual_mov_b32 v8, v5 :: v_dual_mov_b32 v5, v17
	s_delay_alu instid0(VALU_DEP_4)
	v_mov_b32_e32 v4, v10
	s_clause 0x1
	global_load_b128 v[48:51], v[0:1], off
	global_load_b128 v[36:39], v[2:3], off
	v_mov_b32_e32 v0, v19
	v_lshlrev_b64_e32 v[1:2], 4, v[7:8]
	v_mad_co_u64_u32 v[10:11], null, s9, v11, v[4:5]
	v_mad_co_u64_u32 v[4:5], null, s9, v22, v[5:6]
	;; [unrolled: 1-line block ×3, first 2 shown]
	s_delay_alu instid0(VALU_DEP_2) | instskip(SKIP_1) | instid1(VALU_DEP_3)
	v_mov_b32_e32 v17, v4
	v_mad_co_u64_u32 v[3:4], null, s9, v23, v[0:1]
	v_mov_b32_e32 v0, v6
	v_add_co_u32 v1, s0, v20, v1
	v_lshlrev_b64_e32 v[6:7], 4, v[9:10]
	s_wait_alu 0xf1ff
	v_add_co_ci_u32_e64 v2, s0, v21, v2, s0
	s_delay_alu instid0(VALU_DEP_3)
	v_mad_co_u64_u32 v[8:9], null, s9, v24, v[0:1]
	v_mov_b32_e32 v19, v3
	v_lshlrev_b64_e32 v[9:10], 4, v[16:17]
	v_add_co_u32 v3, s0, v20, v6
	s_wait_alu 0xf1ff
	v_add_co_ci_u32_e64 v4, s0, v21, v7, s0
	v_mov_b32_e32 v6, v8
	v_lshlrev_b64_e32 v[16:17], 4, v[18:19]
	v_add_co_u32 v7, s0, v20, v9
	s_wait_alu 0xf1ff
	v_add_co_ci_u32_e64 v8, s0, v21, v10, s0
	v_lshlrev_b64_e32 v[5:6], 4, v[5:6]
	s_delay_alu instid0(VALU_DEP_4) | instskip(SKIP_2) | instid1(VALU_DEP_3)
	v_add_co_u32 v9, s0, v20, v16
	s_wait_alu 0xf1ff
	v_add_co_ci_u32_e64 v10, s0, v21, v17, s0
	v_add_co_u32 v5, s0, v20, v5
	s_wait_alu 0xf1ff
	v_add_co_ci_u32_e64 v6, s0, v21, v6, s0
	s_clause 0x4
	global_load_b128 v[28:31], v[1:2], off
	global_load_b128 v[24:27], v[3:4], off
	;; [unrolled: 1-line block ×5, first 2 shown]
.LBB0_11:
	s_wait_alu 0xfffe
	s_or_b32 exec_lo, exec_lo, s2
	v_mov_b32_e32 v135, v136
.LBB0_12:
	s_wait_alu 0xfffe
	s_or_b32 exec_lo, exec_lo, s1
	s_wait_loadcnt 0x0
	v_add_f64_e32 v[55:56], v[8:9], v[32:33]
	v_add_f64_e64 v[99:100], v[32:33], -v[8:9]
	s_mov_b32 s2, 0xd9c712b6
	s_mov_b32 s24, 0x8eee2c13
	;; [unrolled: 1-line block ×8, first 2 shown]
	v_add_f64_e64 v[101:102], v[34:35], -v[10:11]
	v_add_f64_e32 v[57:58], v[16:17], v[44:45]
	v_add_f64_e32 v[59:60], v[10:11], v[34:35]
	v_add_f64_e64 v[87:88], v[44:45], -v[16:17]
	s_mov_b32 s16, 0x7f775887
	s_mov_b32 s20, 0xbb3a28a1
	;; [unrolled: 1-line block ×8, first 2 shown]
	v_add_f64_e64 v[127:128], v[46:47], -v[18:19]
	v_add_f64_e32 v[93:94], v[20:21], v[40:41]
	v_add_f64_e32 v[97:98], v[18:19], v[46:47]
	v_add_f64_e64 v[133:134], v[40:41], -v[20:21]
	s_mov_b32 s23, 0x3fed1bb4
	s_wait_alu 0xfffe
	s_mov_b32 s22, s24
	v_add_f64_e64 v[131:132], v[42:43], -v[22:23]
	v_add_f64_e32 v[105:106], v[22:23], v[42:43]
	v_add_f64_e32 v[63:64], v[24:25], v[48:49]
	v_add_f64_e64 v[91:92], v[48:49], -v[24:25]
	s_mov_b32 s28, 0x8764f0ba
	s_mov_b32 s34, 0xf8bb580b
	;; [unrolled: 1-line block ×6, first 2 shown]
	v_mul_f64_e32 v[107:108], s[2:3], v[55:56]
	v_mul_f64_e32 v[111:112], s[24:25], v[99:100]
	;; [unrolled: 1-line block ×4, first 2 shown]
	v_add_f64_e64 v[95:96], v[50:51], -v[26:27]
	v_add_f64_e32 v[75:76], v[26:27], v[50:51]
	v_add_f64_e32 v[61:62], v[28:29], v[36:37]
	v_add_f64_e64 v[81:82], v[36:37], -v[28:29]
	s_mov_b32 s27, 0x3fe14ced
	s_mov_b32 s26, s34
	v_add_f64_e64 v[89:90], v[38:39], -v[30:31]
	v_mul_f64_e32 v[103:104], s[16:17], v[57:58]
	v_mul_f64_e32 v[113:114], s[12:13], v[57:58]
	;; [unrolled: 1-line block ×4, first 2 shown]
	s_mov_b32 s1, exec_lo
	v_mul_f64_e32 v[115:116], s[12:13], v[93:94]
	v_mul_f64_e32 v[121:122], s[2:3], v[93:94]
	;; [unrolled: 1-line block ×3, first 2 shown]
	s_wait_alu 0xfffe
	v_mul_f64_e32 v[123:124], s[22:23], v[133:134]
	v_mul_f64_e32 v[77:78], s[6:7], v[63:64]
	;; [unrolled: 1-line block ×5, first 2 shown]
	v_fma_f64 v[0:1], v[101:102], s[24:25], v[107:108]
	v_fma_f64 v[2:3], v[59:60], s[2:3], -v[111:112]
	v_fma_f64 v[4:5], v[101:102], s[14:15], v[125:126]
	v_fma_f64 v[6:7], v[59:60], s[6:7], -v[129:130]
	v_mul_f64_e32 v[73:74], s[20:21], v[81:82]
	v_fma_f64 v[65:66], v[127:128], s[20:21], v[103:104]
	v_fma_f64 v[69:70], v[127:128], s[18:19], v[113:114]
	v_fma_f64 v[67:68], v[97:98], s[16:17], -v[109:110]
	v_fma_f64 v[71:72], v[97:98], s[12:13], -v[117:118]
	v_fma_f64 v[137:138], v[131:132], s[18:19], v[115:116]
	v_fma_f64 v[141:142], v[131:132], s[22:23], v[121:122]
	v_fma_f64 v[139:140], v[105:106], s[12:13], -v[119:120]
	v_fma_f64 v[143:144], v[105:106], s[2:3], -v[123:124]
	v_fma_f64 v[145:146], v[95:96], s[30:31], v[77:78]
	v_fma_f64 v[147:148], v[75:76], s[6:7], -v[79:80]
	v_fma_f64 v[149:150], v[95:96], s[34:35], v[83:84]
	v_fma_f64 v[151:152], v[75:76], s[28:29], -v[85:86]
	v_add_f64_e32 v[0:1], v[12:13], v[0:1]
	v_add_f64_e32 v[2:3], v[14:15], v[2:3]
	;; [unrolled: 1-line block ×4, first 2 shown]
	s_delay_alu instid0(VALU_DEP_4) | instskip(NEXT) | instid1(VALU_DEP_4)
	v_add_f64_e32 v[0:1], v[65:66], v[0:1]
	v_add_f64_e32 v[2:3], v[67:68], v[2:3]
	s_delay_alu instid0(VALU_DEP_4) | instskip(NEXT) | instid1(VALU_DEP_4)
	v_add_f64_e32 v[4:5], v[69:70], v[4:5]
	v_add_f64_e32 v[6:7], v[71:72], v[6:7]
	;; [unrolled: 1-line block ×3, first 2 shown]
	v_mul_f64_e32 v[67:68], s[28:29], v[61:62]
	v_mul_f64_e32 v[69:70], s[26:27], v[81:82]
	;; [unrolled: 1-line block ×3, first 2 shown]
	v_add_f64_e32 v[0:1], v[137:138], v[0:1]
	v_add_f64_e32 v[2:3], v[139:140], v[2:3]
	;; [unrolled: 1-line block ×4, first 2 shown]
	v_fma_f64 v[143:144], v[65:66], s[16:17], -v[73:74]
	v_fma_f64 v[137:138], v[89:90], s[26:27], v[67:68]
	v_fma_f64 v[139:140], v[65:66], s[28:29], -v[69:70]
	v_fma_f64 v[141:142], v[89:90], s[20:21], v[71:72]
	v_add_f64_e32 v[0:1], v[145:146], v[0:1]
	v_add_f64_e32 v[2:3], v[147:148], v[2:3]
	;; [unrolled: 1-line block ×4, first 2 shown]
	s_delay_alu instid0(VALU_DEP_4) | instskip(NEXT) | instid1(VALU_DEP_4)
	v_add_f64_e32 v[4:5], v[137:138], v[0:1]
	v_add_f64_e32 v[6:7], v[139:140], v[2:3]
	s_delay_alu instid0(VALU_DEP_4) | instskip(NEXT) | instid1(VALU_DEP_4)
	v_add_f64_e32 v[0:1], v[141:142], v[145:146]
	v_add_f64_e32 v[2:3], v[143:144], v[147:148]
	v_mul_hi_u32 v137, 0xcccccccd, v54
	s_delay_alu instid0(VALU_DEP_1) | instskip(NEXT) | instid1(VALU_DEP_1)
	v_lshrrev_b32_e32 v137, 2, v137
	v_lshl_add_u32 v137, v137, 2, v137
	s_delay_alu instid0(VALU_DEP_1) | instskip(NEXT) | instid1(VALU_DEP_1)
	v_sub_nc_u32_e32 v54, v54, v137
	v_mul_u32_u24_e32 v54, 0xc6, v54
	s_delay_alu instid0(VALU_DEP_1)
	v_lshlrev_b32_e32 v54, 4, v54
	v_cmpx_gt_u32_e32 18, v136
	s_cbranch_execz .LBB0_14
; %bb.13:
	v_add_f64_e32 v[34:35], v[34:35], v[14:15]
	v_add_f64_e32 v[32:33], v[32:33], v[12:13]
	v_mul_f64_e32 v[145:146], s[18:19], v[127:128]
	v_mul_f64_e32 v[147:148], s[18:19], v[131:132]
	s_mov_b32 s19, 0xbfd207e7
	v_mul_f64_e32 v[137:138], s[2:3], v[105:106]
	v_mul_f64_e32 v[139:140], s[34:35], v[99:100]
	;; [unrolled: 1-line block ×14, first 2 shown]
	v_add_f64_e32 v[34:35], v[46:47], v[34:35]
	v_add_f64_e32 v[32:33], v[44:45], v[32:33]
	v_mul_f64_e32 v[44:45], s[6:7], v[59:60]
	v_mul_f64_e32 v[46:47], s[14:15], v[101:102]
	v_add_f64_e64 v[113:114], v[113:114], -v[145:146]
	v_add_f64_e32 v[123:124], v[137:138], v[123:124]
	v_fma_f64 v[137:138], v[59:60], s[28:29], -v[139:140]
	v_fma_f64 v[139:140], v[59:60], s[28:29], v[139:140]
	v_add_f64_e64 v[121:122], v[121:122], -v[149:150]
	v_add_f64_e32 v[117:118], v[141:142], v[117:118]
	v_fma_f64 v[141:142], v[55:56], s[28:29], v[143:144]
	v_fma_f64 v[143:144], v[55:56], s[28:29], -v[143:144]
	v_add_f64_e32 v[119:120], v[151:152], v[119:120]
	v_add_f64_e32 v[109:110], v[153:154], v[109:110]
	v_fma_f64 v[151:152], v[105:106], s[16:17], v[155:156]
	v_fma_f64 v[153:154], v[97:98], s[28:29], v[157:158]
	v_add_f64_e64 v[115:116], v[115:116], -v[147:148]
	v_fma_f64 v[147:148], v[97:98], s[6:7], -v[161:162]
	v_fma_f64 v[161:162], v[97:98], s[6:7], v[161:162]
	v_add_f64_e64 v[103:104], v[103:104], -v[163:164]
	v_fma_f64 v[163:164], v[105:106], s[6:7], -v[133:134]
	v_add_f64_e32 v[34:35], v[42:43], v[34:35]
	v_add_f64_e32 v[32:33], v[40:41], v[32:33]
	v_mul_f64_e32 v[40:41], s[20:21], v[99:100]
	v_mul_f64_e32 v[42:43], s[20:21], v[101:102]
	s_wait_alu 0xfffe
	v_mul_f64_e32 v[99:100], s[18:19], v[99:100]
	v_add_f64_e32 v[44:45], v[44:45], v[129:130]
	v_add_f64_e64 v[46:47], v[125:126], -v[46:47]
	v_mul_f64_e32 v[129:130], s[20:21], v[131:132]
	v_mul_f64_e32 v[125:126], s[34:35], v[131:132]
	;; [unrolled: 1-line block ×3, first 2 shown]
	v_add_f64_e32 v[143:144], v[12:13], v[143:144]
	v_add_f64_e32 v[34:35], v[50:51], v[34:35]
	v_add_f64_e32 v[32:33], v[48:49], v[32:33]
	v_mul_f64_e32 v[48:49], s[2:3], v[59:60]
	v_mul_f64_e32 v[50:51], s[24:25], v[101:102]
	v_mul_f64_e32 v[101:102], s[18:19], v[101:102]
	v_fma_f64 v[165:166], v[59:60], s[16:17], -v[40:41]
	v_fma_f64 v[40:41], v[59:60], s[16:17], v[40:41]
	v_fma_f64 v[145:146], v[59:60], s[12:13], v[99:100]
	v_fma_f64 v[59:60], v[59:60], s[12:13], -v[99:100]
	v_fma_f64 v[99:100], v[105:106], s[16:17], -v[155:156]
	v_fma_f64 v[155:156], v[105:106], s[28:29], -v[159:160]
	v_add_f64_e32 v[44:45], v[14:15], v[44:45]
	v_add_f64_e32 v[46:47], v[12:13], v[46:47]
	v_add_f64_e32 v[34:35], v[38:39], v[34:35]
	v_add_f64_e32 v[32:33], v[36:37], v[32:33]
	v_mul_f64_e32 v[36:37], s[30:31], v[127:128]
	v_fma_f64 v[38:39], v[55:56], s[16:17], v[42:43]
	v_fma_f64 v[42:43], v[55:56], s[16:17], -v[42:43]
	v_add_f64_e32 v[48:49], v[48:49], v[111:112]
	v_add_f64_e64 v[50:51], v[107:108], -v[50:51]
	v_mul_f64_e32 v[111:112], s[26:27], v[127:128]
	v_mul_f64_e32 v[127:128], s[24:25], v[127:128]
	v_fma_f64 v[149:150], v[55:56], s[12:13], -v[101:102]
	v_fma_f64 v[55:56], v[55:56], s[12:13], v[101:102]
	v_fma_f64 v[101:102], v[97:98], s[28:29], -v[157:158]
	v_fma_f64 v[157:158], v[105:106], s[28:29], v[159:160]
	v_add_f64_e32 v[159:160], v[14:15], v[165:166]
	v_add_f64_e32 v[40:41], v[14:15], v[40:41]
	v_fma_f64 v[105:106], v[105:106], s[6:7], v[133:134]
	v_fma_f64 v[133:134], v[97:98], s[2:3], -v[87:88]
	v_fma_f64 v[87:88], v[97:98], s[2:3], v[87:88]
	v_mul_f64_e32 v[107:108], s[28:29], v[75:76]
	v_mul_f64_e32 v[97:98], s[34:35], v[95:96]
	v_add_f64_e32 v[44:45], v[117:118], v[44:45]
	v_mul_f64_e32 v[117:118], s[20:21], v[95:96]
	v_add_f64_e32 v[46:47], v[113:114], v[46:47]
	;; [unrolled: 2-line block ×3, first 2 shown]
	v_add_f64_e32 v[28:29], v[28:29], v[32:33]
	v_fma_f64 v[165:166], v[57:58], s[6:7], v[36:37]
	v_add_f64_e32 v[38:39], v[12:13], v[38:39]
	v_fma_f64 v[36:37], v[57:58], s[6:7], -v[36:37]
	v_add_f64_e32 v[42:43], v[12:13], v[42:43]
	v_add_f64_e32 v[48:49], v[14:15], v[48:49]
	;; [unrolled: 1-line block ×3, first 2 shown]
	v_fma_f64 v[32:33], v[57:58], s[28:29], v[111:112]
	v_add_f64_e32 v[34:35], v[14:15], v[137:138]
	v_fma_f64 v[111:112], v[57:58], s[28:29], -v[111:112]
	v_add_f64_e32 v[137:138], v[14:15], v[139:140]
	v_fma_f64 v[139:140], v[57:58], s[2:3], -v[127:128]
	v_fma_f64 v[57:58], v[57:58], s[2:3], v[127:128]
	v_add_f64_e32 v[127:128], v[14:15], v[145:146]
	v_add_f64_e32 v[145:146], v[12:13], v[149:150]
	;; [unrolled: 1-line block ×5, first 2 shown]
	v_fma_f64 v[59:60], v[93:94], s[16:17], v[129:130]
	v_fma_f64 v[129:130], v[93:94], s[16:17], -v[129:130]
	v_fma_f64 v[141:142], v[93:94], s[28:29], v[125:126]
	v_fma_f64 v[125:126], v[93:94], s[28:29], -v[125:126]
	;; [unrolled: 2-line block ×3, first 2 shown]
	v_mul_f64_e32 v[131:132], s[6:7], v[75:76]
	v_add_f64_e32 v[147:148], v[147:148], v[159:160]
	v_mul_f64_e32 v[159:160], s[30:31], v[95:96]
	v_add_f64_e32 v[40:41], v[161:162], v[40:41]
	v_mul_f64_e32 v[161:162], s[20:21], v[91:92]
	v_add_f64_e64 v[83:84], v[83:84], -v[97:98]
	v_add_f64_e32 v[44:45], v[123:124], v[44:45]
	v_add_f64_e32 v[46:47], v[121:122], v[46:47]
	;; [unrolled: 1-line block ×5, first 2 shown]
	v_mul_f64_e32 v[28:29], s[20:21], v[89:90]
	v_add_f64_e32 v[38:39], v[165:166], v[38:39]
	v_mul_f64_e32 v[165:166], s[22:23], v[91:92]
	v_add_f64_e32 v[36:37], v[36:37], v[42:43]
	v_mul_f64_e32 v[42:43], s[22:23], v[95:96]
	v_mul_f64_e32 v[91:92], s[18:19], v[91:92]
	;; [unrolled: 1-line block ×3, first 2 shown]
	v_add_f64_e32 v[48:49], v[109:110], v[48:49]
	v_add_f64_e32 v[50:51], v[103:104], v[50:51]
	;; [unrolled: 1-line block ×10, first 2 shown]
	v_mul_f64_e32 v[109:110], s[14:15], v[81:82]
	v_mul_f64_e32 v[103:104], s[14:15], v[89:90]
	;; [unrolled: 1-line block ×7, first 2 shown]
	v_add_f64_e32 v[81:82], v[107:108], v[85:86]
	v_add_f64_e32 v[79:80], v[131:132], v[79:80]
	v_add_f64_e64 v[77:78], v[77:78], -v[159:160]
	v_fma_f64 v[97:98], v[75:76], s[16:17], -v[161:162]
	v_fma_f64 v[101:102], v[75:76], s[16:17], v[161:162]
	v_fma_f64 v[131:132], v[63:64], s[16:17], v[117:118]
	v_fma_f64 v[117:118], v[63:64], s[16:17], -v[117:118]
	v_mul_f64_e32 v[143:144], s[16:17], v[65:66]
	v_add_f64_e32 v[40:41], v[157:158], v[40:41]
	v_add_f64_e32 v[46:47], v[83:84], v[46:47]
	;; [unrolled: 1-line block ×4, first 2 shown]
	v_add_f64_e64 v[28:29], v[71:72], -v[28:29]
	v_add_f64_e32 v[38:39], v[141:142], v[38:39]
	v_fma_f64 v[85:86], v[75:76], s[2:3], -v[165:166]
	v_fma_f64 v[89:90], v[75:76], s[2:3], v[165:166]
	v_fma_f64 v[107:108], v[63:64], s[2:3], v[42:43]
	v_fma_f64 v[42:43], v[63:64], s[2:3], -v[42:43]
	v_fma_f64 v[145:146], v[75:76], s[12:13], -v[91:92]
	v_fma_f64 v[75:76], v[75:76], s[12:13], v[91:92]
	v_fma_f64 v[91:92], v[63:64], s[12:13], v[95:96]
	v_fma_f64 v[63:64], v[63:64], s[12:13], -v[95:96]
	v_add_f64_e32 v[95:96], v[155:156], v[147:148]
	v_add_f64_e32 v[48:49], v[119:120], v[48:49]
	;; [unrolled: 1-line block ×12, first 2 shown]
	v_fma_f64 v[99:100], v[61:62], s[6:7], v[103:104]
	v_fma_f64 v[103:104], v[61:62], s[6:7], -v[103:104]
	v_fma_f64 v[24:25], v[65:66], s[2:3], -v[133:134]
	v_fma_f64 v[26:27], v[61:62], s[2:3], v[137:138]
	v_fma_f64 v[119:120], v[61:62], s[2:3], -v[137:138]
	v_add_f64_e64 v[30:31], v[67:68], -v[30:31]
	v_fma_f64 v[71:72], v[61:62], s[12:13], v[57:58]
	v_fma_f64 v[57:58], v[61:62], s[12:13], -v[57:58]
	v_add_f64_e32 v[44:45], v[81:82], v[44:45]
	v_add_f64_e32 v[73:74], v[143:144], v[73:74]
	v_fma_f64 v[115:116], v[65:66], s[2:3], v[133:134]
	v_fma_f64 v[59:60], v[65:66], s[6:7], -v[109:110]
	v_fma_f64 v[109:110], v[65:66], s[6:7], v[109:110]
	v_fma_f64 v[67:68], v[65:66], s[12:13], -v[55:56]
	v_fma_f64 v[55:56], v[65:66], s[12:13], v[55:56]
	v_add_f64_e32 v[81:82], v[18:19], v[22:23]
	v_add_f64_e32 v[83:84], v[16:17], v[20:21]
	;; [unrolled: 1-line block ×18, first 2 shown]
	v_mul_u32_u24_e32 v44, 0xb0, v136
	s_delay_alu instid0(VALU_DEP_1)
	v_add3_u32 v44, 0, v44, v54
	v_add_f64_e32 v[10:11], v[10:11], v[81:82]
	v_add_f64_e32 v[8:9], v[8:9], v[83:84]
	;; [unrolled: 1-line block ×16, first 2 shown]
	ds_store_b128 v44, v[0:3] offset:128
	ds_store_b128 v44, v[4:7] offset:144
	ds_store_b128 v44, v[24:27] offset:32
	ds_store_b128 v44, v[20:23] offset:48
	ds_store_b128 v44, v[16:19] offset:64
	ds_store_b128 v44, v[36:39] offset:80
	ds_store_b128 v44, v[12:15] offset:112
	ds_store_b128 v44, v[40:43] offset:96
	ds_store_b128 v44, v[32:35] offset:16
	ds_store_b128 v44, v[8:11]
	ds_store_b128 v44, v[28:31] offset:160
.LBB0_14:
	s_or_b32 exec_lo, exec_lo, s1
	v_lshlrev_b32_e32 v8, 4, v136
	global_wb scope:SCOPE_SE
	s_wait_dscnt 0x0
	s_barrier_signal -1
	s_barrier_wait -1
	global_inv scope:SCOPE_SE
	v_add3_u32 v41, 0, v54, v8
	v_add3_u32 v40, 0, v8, v54
	v_cmp_gt_u32_e64 s0, 11, v136
	ds_load_b128 v[12:15], v41
	ds_load_b128 v[16:19], v40 offset:352
	ds_load_b128 v[28:31], v40 offset:1584
	;; [unrolled: 1-line block ×7, first 2 shown]
	s_and_saveexec_b32 s1, s0
	s_cbranch_execz .LBB0_16
; %bb.15:
	ds_load_b128 v[0:3], v40 offset:1408
	ds_load_b128 v[4:7], v40 offset:2992
.LBB0_16:
	s_wait_alu 0xfffe
	s_or_b32 exec_lo, exec_lo, s1
	v_add_nc_u16 v42, v136, 22
	v_add_nc_u16 v43, v136, 44
	;; [unrolled: 1-line block ×3, first 2 shown]
	v_mov_b32_e32 v51, 0
	s_delay_alu instid0(VALU_DEP_4) | instskip(NEXT) | instid1(VALU_DEP_4)
	v_and_b32_e32 v45, 0xff, v42
	v_and_b32_e32 v46, 0xff, v43
	s_delay_alu instid0(VALU_DEP_4) | instskip(NEXT) | instid1(VALU_DEP_3)
	v_and_b32_e32 v47, 0xff, v44
	v_mul_lo_u16 v45, 0x75, v45
	s_delay_alu instid0(VALU_DEP_3) | instskip(NEXT) | instid1(VALU_DEP_3)
	v_mul_lo_u16 v46, 0x75, v46
	v_mul_lo_u16 v47, 0x75, v47
	s_delay_alu instid0(VALU_DEP_3) | instskip(NEXT) | instid1(VALU_DEP_3)
	v_lshrrev_b16 v45, 8, v45
	v_lshrrev_b16 v46, 8, v46
	s_delay_alu instid0(VALU_DEP_3) | instskip(NEXT) | instid1(VALU_DEP_3)
	v_lshrrev_b16 v47, 8, v47
	v_sub_nc_u16 v48, v42, v45
	s_delay_alu instid0(VALU_DEP_3) | instskip(NEXT) | instid1(VALU_DEP_3)
	v_sub_nc_u16 v49, v43, v46
	v_sub_nc_u16 v50, v44, v47
	s_delay_alu instid0(VALU_DEP_3) | instskip(NEXT) | instid1(VALU_DEP_3)
	v_lshrrev_b16 v48, 1, v48
	v_lshrrev_b16 v49, 1, v49
	s_delay_alu instid0(VALU_DEP_3) | instskip(NEXT) | instid1(VALU_DEP_3)
	v_lshrrev_b16 v50, 1, v50
	v_and_b32_e32 v48, 0x7f, v48
	s_delay_alu instid0(VALU_DEP_3) | instskip(NEXT) | instid1(VALU_DEP_3)
	v_and_b32_e32 v49, 0x7f, v49
	v_and_b32_e32 v50, 0x7f, v50
	s_delay_alu instid0(VALU_DEP_3) | instskip(NEXT) | instid1(VALU_DEP_3)
	v_add_nc_u16 v45, v48, v45
	v_add_nc_u16 v46, v49, v46
	s_delay_alu instid0(VALU_DEP_3) | instskip(NEXT) | instid1(VALU_DEP_3)
	v_add_nc_u16 v47, v50, v47
	v_lshrrev_b16 v71, 3, v45
	s_delay_alu instid0(VALU_DEP_3) | instskip(SKIP_1) | instid1(VALU_DEP_4)
	v_lshrrev_b16 v72, 3, v46
	v_add_nc_u32_e32 v45, -11, v136
	v_lshrrev_b16 v73, 3, v47
	s_delay_alu instid0(VALU_DEP_4) | instskip(NEXT) | instid1(VALU_DEP_4)
	v_mul_lo_u16 v46, v71, 11
	v_mul_lo_u16 v47, v72, 11
	s_delay_alu instid0(VALU_DEP_4) | instskip(NEXT) | instid1(VALU_DEP_4)
	v_cndmask_b32_e64 v50, v45, v136, s0
	v_mul_lo_u16 v45, v73, 11
	s_delay_alu instid0(VALU_DEP_4) | instskip(NEXT) | instid1(VALU_DEP_4)
	v_sub_nc_u16 v46, v42, v46
	v_sub_nc_u16 v47, v43, v47
	s_delay_alu instid0(VALU_DEP_4) | instskip(NEXT) | instid1(VALU_DEP_4)
	v_lshlrev_b64_e32 v[42:43], 4, v[50:51]
	v_sub_nc_u16 v44, v44, v45
	s_delay_alu instid0(VALU_DEP_4) | instskip(NEXT) | instid1(VALU_DEP_4)
	v_and_b32_e32 v45, 0xff, v46
	v_and_b32_e32 v46, 0xff, v47
	s_delay_alu instid0(VALU_DEP_4)
	v_add_co_u32 v42, s1, s4, v42
	s_wait_alu 0xf1ff
	v_add_co_ci_u32_e64 v43, s1, s5, v43, s1
	v_and_b32_e32 v47, 0xff, v44
	v_lshlrev_b32_e32 v51, 4, v45
	v_lshlrev_b32_e32 v74, 4, v46
	global_load_b128 v[42:45], v[42:43], off
	v_cmp_lt_u32_e64 s1, 10, v136
	v_lshlrev_b32_e32 v75, 4, v47
	s_clause 0x2
	global_load_b128 v[46:49], v51, s[4:5]
	global_load_b128 v[55:58], v74, s[4:5]
	;; [unrolled: 1-line block ×3, first 2 shown]
	global_wb scope:SCOPE_SE
	s_wait_loadcnt_dscnt 0x0
	s_barrier_signal -1
	s_barrier_wait -1
	global_inv scope:SCOPE_SE
	v_mul_f64_e32 v[63:64], v[30:31], v[44:45]
	v_mul_f64_e32 v[44:45], v[28:29], v[44:45]
	;; [unrolled: 1-line block ×8, first 2 shown]
	v_fma_f64 v[28:29], v[28:29], v[42:43], -v[63:64]
	v_fma_f64 v[30:31], v[30:31], v[42:43], v[44:45]
	v_fma_f64 v[42:43], v[24:25], v[46:47], -v[65:66]
	v_fma_f64 v[44:45], v[26:27], v[46:47], v[48:49]
	;; [unrolled: 2-line block ×4, first 2 shown]
	v_add_f64_e64 v[24:25], v[12:13], -v[28:29]
	v_add_f64_e64 v[26:27], v[14:15], -v[30:31]
	;; [unrolled: 1-line block ×8, first 2 shown]
	s_wait_alu 0xf1ff
	v_cndmask_b32_e64 v42, 0, 0x160, s1
	v_lshlrev_b32_e32 v43, 4, v50
	v_and_b32_e32 v44, 0xffff, v71
	v_and_b32_e32 v45, 0xffff, v72
	;; [unrolled: 1-line block ×3, first 2 shown]
	v_add_nc_u32_e32 v42, 0, v42
	s_delay_alu instid0(VALU_DEP_1) | instskip(SKIP_3) | instid1(VALU_DEP_3)
	v_add3_u32 v42, v42, v43, v54
	v_mad_u32_u24 v43, 0x160, v44, 0
	v_mad_u32_u24 v44, 0x160, v45, 0
	;; [unrolled: 1-line block ×3, first 2 shown]
	v_add3_u32 v43, v43, v51, v54
	s_delay_alu instid0(VALU_DEP_3) | instskip(NEXT) | instid1(VALU_DEP_3)
	v_add3_u32 v44, v44, v74, v54
	v_add3_u32 v45, v45, v75, v54
	v_fma_f64 v[12:13], v[12:13], 2.0, -v[24:25]
	v_fma_f64 v[14:15], v[14:15], 2.0, -v[26:27]
	;; [unrolled: 1-line block ×8, first 2 shown]
	ds_store_b128 v42, v[12:15]
	ds_store_b128 v42, v[24:27] offset:176
	ds_store_b128 v43, v[16:19]
	ds_store_b128 v43, v[28:31] offset:176
	;; [unrolled: 2-line block ×4, first 2 shown]
	s_and_saveexec_b32 s1, s0
	s_cbranch_execz .LBB0_18
; %bb.17:
	v_add_nc_u16 v8, v136, 0x58
	s_delay_alu instid0(VALU_DEP_1) | instskip(NEXT) | instid1(VALU_DEP_1)
	v_and_b32_e32 v9, 0xff, v8
	v_mul_lo_u16 v9, 0x75, v9
	s_delay_alu instid0(VALU_DEP_1) | instskip(NEXT) | instid1(VALU_DEP_1)
	v_lshrrev_b16 v9, 8, v9
	v_sub_nc_u16 v10, v8, v9
	s_delay_alu instid0(VALU_DEP_1) | instskip(NEXT) | instid1(VALU_DEP_1)
	v_lshrrev_b16 v10, 1, v10
	v_and_b32_e32 v10, 0x7f, v10
	s_delay_alu instid0(VALU_DEP_1) | instskip(NEXT) | instid1(VALU_DEP_1)
	v_add_nc_u16 v9, v10, v9
	v_lshrrev_b16 v9, 3, v9
	s_delay_alu instid0(VALU_DEP_1) | instskip(NEXT) | instid1(VALU_DEP_1)
	v_mul_lo_u16 v9, v9, 11
	v_sub_nc_u16 v8, v8, v9
	s_delay_alu instid0(VALU_DEP_1) | instskip(NEXT) | instid1(VALU_DEP_1)
	v_and_b32_e32 v8, 0xff, v8
	v_lshlrev_b32_e32 v14, 4, v8
	global_load_b128 v[8:11], v14, s[4:5]
	s_wait_loadcnt 0x0
	v_mul_f64_e32 v[12:13], v[4:5], v[10:11]
	v_mul_f64_e32 v[10:11], v[6:7], v[10:11]
	s_delay_alu instid0(VALU_DEP_2) | instskip(NEXT) | instid1(VALU_DEP_2)
	v_fma_f64 v[6:7], v[6:7], v[8:9], v[12:13]
	v_fma_f64 v[4:5], v[4:5], v[8:9], -v[10:11]
	v_add3_u32 v8, 0, v14, v54
	s_delay_alu instid0(VALU_DEP_3) | instskip(NEXT) | instid1(VALU_DEP_3)
	v_add_f64_e64 v[6:7], v[2:3], -v[6:7]
	v_add_f64_e64 v[4:5], v[0:1], -v[4:5]
	s_delay_alu instid0(VALU_DEP_2) | instskip(NEXT) | instid1(VALU_DEP_2)
	v_fma_f64 v[2:3], v[2:3], 2.0, -v[6:7]
	v_fma_f64 v[0:1], v[0:1], 2.0, -v[4:5]
	ds_store_b128 v8, v[0:3] offset:2816
	ds_store_b128 v8, v[4:7] offset:2992
.LBB0_18:
	s_wait_alu 0xfffe
	s_or_b32 exec_lo, exec_lo, s1
	global_wb scope:SCOPE_SE
	s_wait_dscnt 0x0
	s_barrier_signal -1
	s_barrier_wait -1
	global_inv scope:SCOPE_SE
	s_and_saveexec_b32 s0, vcc_lo
	s_cbranch_execz .LBB0_20
; %bb.19:
	v_dual_mov_b32 v1, 0 :: v_dual_lshlrev_b32 v0, 3, v136
	s_mov_b32 s0, 0x8c811c17
	s_mov_b32 s1, 0x3fef838b
	;; [unrolled: 1-line block ×4, first 2 shown]
	v_lshlrev_b64_e32 v[0:1], 4, v[0:1]
	s_mov_b32 s6, 0x42522d1b
	s_mov_b32 s7, 0xbfee11f6
	v_lshlrev_b64_e32 v[52:53], 4, v[52:53]
	v_add_nc_u32_e32 v92, 0x6e, v135
	s_delay_alu instid0(VALU_DEP_3)
	v_add_co_u32 v28, vcc_lo, s4, v0
	s_wait_alu 0xfffd
	v_add_co_ci_u32_e32 v29, vcc_lo, s5, v1, vcc_lo
	s_mov_b32 s4, 0xa2cf5039
	s_mov_b32 s5, 0x3fe8836f
	s_clause 0x7
	global_load_b128 v[0:3], v[28:29], off offset:224
	global_load_b128 v[4:7], v[28:29], off offset:240
	;; [unrolled: 1-line block ×8, first 2 shown]
	ds_load_b128 v[32:35], v40 offset:1408
	ds_load_b128 v[36:39], v40 offset:1760
	;; [unrolled: 1-line block ×6, first 2 shown]
	ds_load_b128 v[62:65], v41
	s_wait_loadcnt_dscnt 0x706
	v_mul_f64_e32 v[66:67], v[2:3], v[34:35]
	s_wait_loadcnt_dscnt 0x605
	v_mul_f64_e32 v[68:69], v[6:7], v[38:39]
	v_mul_f64_e32 v[34:35], v[0:1], v[34:35]
	;; [unrolled: 1-line block ×3, first 2 shown]
	s_wait_loadcnt_dscnt 0x504
	v_mul_f64_e32 v[72:73], v[10:11], v[44:45]
	s_wait_loadcnt_dscnt 0x403
	v_mul_f64_e32 v[74:75], v[14:15], v[48:49]
	;; [unrolled: 2-line block ×4, first 2 shown]
	v_mul_f64_e32 v[56:57], v[18:19], v[56:57]
	v_mul_f64_e32 v[60:61], v[22:23], v[60:61]
	;; [unrolled: 1-line block ×4, first 2 shown]
	ds_load_b128 v[48:51], v40 offset:1056
	ds_load_b128 v[38:41], v40 offset:2112
	v_fma_f64 v[0:1], v[0:1], v[32:33], -v[66:67]
	v_fma_f64 v[4:5], v[4:5], v[36:37], -v[68:69]
	v_fma_f64 v[2:3], v[32:33], v[2:3], v[34:35]
	v_fma_f64 v[6:7], v[36:37], v[6:7], v[70:71]
	s_wait_loadcnt_dscnt 0x101
	v_mul_f64_e32 v[32:33], v[26:27], v[50:51]
	s_wait_loadcnt_dscnt 0x0
	v_mul_f64_e32 v[34:35], v[30:31], v[40:41]
	v_mul_f64_e32 v[36:37], v[24:25], v[50:51]
	;; [unrolled: 1-line block ×3, first 2 shown]
	v_fma_f64 v[8:9], v[8:9], v[42:43], -v[72:73]
	v_fma_f64 v[12:13], v[12:13], v[46:47], -v[74:75]
	;; [unrolled: 1-line block ×4, first 2 shown]
	v_fma_f64 v[10:11], v[42:43], v[10:11], v[44:45]
	v_fma_f64 v[14:15], v[46:47], v[14:15], v[76:77]
	;; [unrolled: 1-line block ×4, first 2 shown]
	v_mad_co_u64_u32 v[78:79], null, s8, v135, 0
	v_add_nc_u32_e32 v89, 44, v135
	v_add_f64_e64 v[42:43], v[0:1], -v[4:5]
	v_add_f64_e64 v[44:45], v[2:3], -v[6:7]
	v_fma_f64 v[24:25], v[24:25], v[48:49], -v[32:33]
	v_fma_f64 v[28:29], v[28:29], v[38:39], -v[34:35]
	v_fma_f64 v[26:27], v[48:49], v[26:27], v[36:37]
	v_fma_f64 v[30:31], v[38:39], v[30:31], v[40:41]
	v_add_f64_e32 v[40:41], v[2:3], v[6:7]
	v_add_f64_e32 v[36:37], v[8:9], v[12:13]
	v_add_f64_e64 v[8:9], v[8:9], -v[12:13]
	v_add_f64_e32 v[38:39], v[16:17], v[20:21]
	v_add_f64_e32 v[12:13], v[0:1], v[4:5]
	v_add_f64_e32 v[32:33], v[10:11], v[14:15]
	v_add_f64_e64 v[10:11], v[10:11], -v[14:15]
	v_add_f64_e32 v[34:35], v[18:19], v[22:23]
	v_add_f64_e64 v[16:17], v[16:17], -v[20:21]
	v_add_f64_e64 v[18:19], v[18:19], -v[22:23]
	s_wait_alu 0xfffe
	v_mul_f64_e32 v[14:15], s[0:1], v[42:43]
	v_mul_f64_e32 v[58:59], s[2:3], v[42:43]
	;; [unrolled: 1-line block ×4, first 2 shown]
	v_add_f64_e32 v[22:23], v[24:25], v[28:29]
	v_add_f64_e64 v[24:25], v[24:25], -v[28:29]
	v_add_f64_e32 v[20:21], v[26:27], v[30:31]
	v_fma_f64 v[60:61], v[40:41], s[4:5], v[64:65]
	v_fma_f64 v[50:51], v[36:37], s[4:5], v[62:63]
	v_add_f64_e64 v[26:27], v[26:27], -v[30:31]
	v_add_f64_e32 v[56:57], v[36:37], v[38:39]
	v_fma_f64 v[68:69], v[12:13], s[4:5], v[62:63]
	v_fma_f64 v[48:49], v[32:33], s[4:5], v[64:65]
	;; [unrolled: 1-line block ×3, first 2 shown]
	v_add_f64_e32 v[54:55], v[32:33], v[34:35]
	v_fma_f64 v[70:71], v[34:35], s[4:5], v[64:65]
	v_add_f64_e32 v[80:81], v[42:43], v[16:17]
	v_add_f64_e32 v[84:85], v[44:45], v[18:19]
	s_mov_b32 s4, 0x748a0bf8
	s_mov_b32 s5, 0x3fd5e3a8
	v_fma_f64 v[14:15], v[8:9], s[2:3], -v[14:15]
	v_fma_f64 v[58:59], v[16:17], s[0:1], v[58:59]
	v_fma_f64 v[46:47], v[10:11], s[2:3], -v[46:47]
	s_mov_b32 s3, 0x3fe491b7
	v_fma_f64 v[66:67], v[18:19], s[0:1], v[66:67]
	s_wait_alu 0xfffe
	v_mul_f64_e32 v[74:75], s[2:3], v[16:17]
	v_mul_f64_e32 v[76:77], s[2:3], v[18:19]
	s_mov_b32 s2, 0x7e0b738b
	s_mov_b32 s3, 0x3fc63a1a
	v_add_f64_e32 v[82:83], v[20:21], v[64:65]
	s_wait_alu 0xfffe
	v_fma_f64 v[30:31], v[12:13], s[2:3], v[50:51]
	v_add_f64_e32 v[50:51], v[22:23], v[56:57]
	v_fma_f64 v[28:29], v[40:41], s[2:3], v[48:49]
	v_fma_f64 v[60:61], v[34:35], s[2:3], v[60:61]
	v_add_f64_e32 v[48:49], v[20:21], v[54:55]
	v_fma_f64 v[68:69], v[38:39], s[2:3], v[68:69]
	v_fma_f64 v[70:71], v[32:33], s[2:3], v[70:71]
	;; [unrolled: 1-line block ×3, first 2 shown]
	v_add_f64_e32 v[54:55], v[40:41], v[54:55]
	s_mov_b32 s3, 0xbfebb67a
	v_add_f64_e32 v[86:87], v[22:23], v[62:63]
	v_add_f64_e32 v[56:57], v[12:13], v[56:57]
	v_add_f64_e64 v[80:81], v[80:81], -v[8:9]
	v_add_f64_e64 v[84:85], v[84:85], -v[10:11]
	v_fma_f64 v[74:75], v[8:9], s[0:1], v[74:75]
	v_fma_f64 v[76:77], v[10:11], s[0:1], v[76:77]
	s_mov_b32 s0, 0xe8584cab
	s_mov_b32 s1, 0x3febb67a
	s_wait_alu 0xfffe
	s_mov_b32 s2, s0
	v_fma_f64 v[14:15], v[24:25], s[0:1], v[14:15]
	v_fma_f64 v[30:31], v[22:23], -0.5, v[30:31]
	v_add_f64_e32 v[0:1], v[0:1], v[50:51]
	v_fma_f64 v[28:29], v[20:21], -0.5, v[28:29]
	v_fma_f64 v[46:47], v[26:27], s[0:1], v[46:47]
	v_add_f64_e32 v[2:3], v[2:3], v[48:49]
	s_wait_alu 0xfffe
	v_fma_f64 v[48:49], v[24:25], s[2:3], v[58:59]
	v_fma_f64 v[50:51], v[20:21], -0.5, v[60:61]
	v_fma_f64 v[58:59], v[26:27], s[2:3], v[66:67]
	v_fma_f64 v[60:61], v[22:23], -0.5, v[68:69]
	v_fma_f64 v[20:21], v[20:21], -0.5, v[70:71]
	;; [unrolled: 1-line block ×5, first 2 shown]
	v_fma_f64 v[24:25], v[24:25], s[0:1], v[74:75]
	v_fma_f64 v[26:27], v[26:27], s[0:1], v[76:77]
	v_mad_co_u64_u32 v[74:75], null, s8, v92, 0
	v_fma_f64 v[82:83], v[16:17], s[4:5], v[14:15]
	v_fma_f64 v[16:17], v[38:39], s[6:7], v[30:31]
	v_add_f64_e32 v[30:31], v[4:5], v[0:1]
	v_mov_b32_e32 v0, v79
	v_mad_co_u64_u32 v[68:69], null, s8, v89, 0
	v_fma_f64 v[14:15], v[34:35], s[6:7], v[28:29]
	v_fma_f64 v[28:29], v[18:19], s[4:5], v[46:47]
	v_add_nc_u32_e32 v88, 22, v135
	v_fma_f64 v[34:35], v[8:9], s[4:5], v[48:49]
	v_fma_f64 v[8:9], v[32:33], s[6:7], v[50:51]
	;; [unrolled: 1-line block ×4, first 2 shown]
	v_add_f64_e32 v[18:19], v[6:7], v[2:3]
	v_fma_f64 v[20:21], v[40:41], s[6:7], v[20:21]
	v_fma_f64 v[22:23], v[12:13], s[6:7], v[22:23]
	v_add_co_u32 v59, vcc_lo, s10, v52
	s_wait_alu 0xfffd
	v_add_co_ci_u32_e32 v60, vcc_lo, s11, v53, vcc_lo
	v_mul_f64_e32 v[52:53], s[0:1], v[84:85]
	v_fma_f64 v[38:39], v[42:43], s[4:5], v[24:25]
	v_fma_f64 v[40:41], v[44:45], s[4:5], v[26:27]
	v_mad_co_u64_u32 v[24:25], null, s9, v135, v[0:1]
	v_mov_b32_e32 v1, v69
	v_mad_co_u64_u32 v[66:67], null, s8, v88, 0
	v_add_nc_u32_e32 v91, 0x58, v135
	v_dual_mov_b32 v25, v75 :: v_dual_add_nc_u32 v94, 0x9a, v135
	v_mov_b32_e32 v79, v24
	v_add_f64_e64 v[6:7], v[14:15], -v[82:83]
	v_mov_b32_e32 v0, v67
	v_mad_co_u64_u32 v[72:73], null, s8, v91, 0
	v_add_nc_u32_e32 v90, 0x42, v135
	v_add_f64_e64 v[14:15], v[8:9], -v[34:35]
	s_delay_alu instid0(VALU_DEP_4)
	v_mad_co_u64_u32 v[46:47], null, s9, v88, v[0:1]
	v_add_f64_e32 v[12:13], v[32:33], v[36:37]
	v_add_f64_e32 v[10:11], v[64:65], v[18:19]
	v_mov_b32_e32 v3, v73
	v_mad_co_u64_u32 v[70:71], null, s8, v90, 0
	v_add_nc_u32_e32 v93, 0x84, v135
	v_add_f64_e32 v[8:9], v[62:63], v[30:31]
	v_mov_b32_e32 v67, v46
	v_mad_co_u64_u32 v[42:43], null, s8, v94, 0
	v_mov_b32_e32 v2, v71
	v_mad_co_u64_u32 v[76:77], null, s8, v93, 0
	v_add_nc_u32_e32 v95, 0xb0, v135
	s_delay_alu instid0(VALU_DEP_3) | instskip(SKIP_1) | instid1(VALU_DEP_4)
	v_mad_co_u64_u32 v[47:48], null, s9, v89, v[1:2]
	v_mad_co_u64_u32 v[48:49], null, s9, v90, v[2:3]
	v_mov_b32_e32 v26, v77
	v_mad_co_u64_u32 v[49:50], null, s9, v91, v[3:4]
	v_add_f64_e32 v[4:5], v[28:29], v[16:17]
	v_mul_f64_e32 v[50:51], s[0:1], v[80:81]
	v_fma_f64 v[2:3], v[80:81], s[2:3], v[54:55]
	v_fma_f64 v[0:1], v[84:85], s[0:1], v[56:57]
	v_add_f64_e64 v[18:19], v[20:21], -v[38:39]
	v_add_f64_e32 v[16:17], v[40:41], v[22:23]
	v_lshlrev_b64_e32 v[20:21], 4, v[78:79]
	v_mov_b32_e32 v69, v47
	v_lshlrev_b64_e32 v[22:23], 4, v[66:67]
	v_mov_b32_e32 v71, v48
	v_mad_co_u64_u32 v[36:37], null, s9, v92, v[25:26]
	s_delay_alu instid0(VALU_DEP_4)
	v_lshlrev_b64_e32 v[24:25], 4, v[68:69]
	v_add_co_u32 v46, vcc_lo, v59, v20
	s_wait_alu 0xfffd
	v_add_co_ci_u32_e32 v47, vcc_lo, v60, v21, vcc_lo
	v_mad_co_u64_u32 v[54:55], null, s9, v93, v[26:27]
	v_lshlrev_b64_e32 v[26:27], 4, v[70:71]
	v_add_co_u32 v48, vcc_lo, v59, v22
	v_mov_b32_e32 v73, v49
	s_wait_alu 0xfffd
	v_add_co_ci_u32_e32 v49, vcc_lo, v60, v23, vcc_lo
	v_add_co_u32 v55, vcc_lo, v59, v24
	s_wait_alu 0xfffd
	v_add_co_ci_u32_e32 v56, vcc_lo, v60, v25, vcc_lo
	v_add_co_u32 v57, vcc_lo, v59, v26
	s_wait_alu 0xfffd
	v_add_co_ci_u32_e32 v58, vcc_lo, v60, v27, vcc_lo
	v_fma_f64 v[26:27], v[82:83], 2.0, v[6:7]
	v_mad_co_u64_u32 v[44:45], null, s8, v95, 0
	v_fma_f64 v[30:31], v[34:35], 2.0, v[14:15]
	global_store_b128 v[46:47], v[8:11], off
	v_fma_f64 v[24:25], v[28:29], -2.0, v[4:5]
	v_fma_f64 v[28:29], v[32:33], -2.0, v[12:13]
	v_fma_f64 v[22:23], v[50:51], 2.0, v[2:3]
	v_fma_f64 v[20:21], v[52:53], -2.0, v[0:1]
	v_fma_f64 v[10:11], v[38:39], 2.0, v[18:19]
	v_fma_f64 v[8:9], v[40:41], -2.0, v[16:17]
	s_clause 0x2
	global_store_b128 v[48:49], v[16:19], off
	global_store_b128 v[55:56], v[12:15], off
	global_store_b128 v[57:58], v[0:3], off
	v_mad_co_u64_u32 v[2:3], null, s9, v94, v[43:44]
	v_mov_b32_e32 v3, v45
	v_mov_b32_e32 v75, v36
	v_lshlrev_b64_e32 v[0:1], 4, v[72:73]
	v_mov_b32_e32 v77, v54
	s_delay_alu instid0(VALU_DEP_4) | instskip(NEXT) | instid1(VALU_DEP_4)
	v_mad_co_u64_u32 v[14:15], null, s9, v95, v[3:4]
	v_lshlrev_b64_e32 v[12:13], 4, v[74:75]
	s_delay_alu instid0(VALU_DEP_4) | instskip(NEXT) | instid1(VALU_DEP_4)
	v_add_co_u32 v0, vcc_lo, v59, v0
	v_lshlrev_b64_e32 v[15:16], 4, v[76:77]
	v_mov_b32_e32 v43, v2
	s_wait_alu 0xfffd
	v_add_co_ci_u32_e32 v1, vcc_lo, v60, v1, vcc_lo
	v_add_co_u32 v2, vcc_lo, v59, v12
	v_mov_b32_e32 v45, v14
	s_wait_alu 0xfffd
	v_add_co_ci_u32_e32 v3, vcc_lo, v60, v13, vcc_lo
	v_lshlrev_b64_e32 v[12:13], 4, v[42:43]
	v_add_co_u32 v14, vcc_lo, v59, v15
	s_wait_alu 0xfffd
	v_add_co_ci_u32_e32 v15, vcc_lo, v60, v16, vcc_lo
	v_lshlrev_b64_e32 v[16:17], 4, v[44:45]
	s_delay_alu instid0(VALU_DEP_4) | instskip(SKIP_2) | instid1(VALU_DEP_3)
	v_add_co_u32 v12, vcc_lo, v59, v12
	s_wait_alu 0xfffd
	v_add_co_ci_u32_e32 v13, vcc_lo, v60, v13, vcc_lo
	v_add_co_u32 v16, vcc_lo, v59, v16
	s_wait_alu 0xfffd
	v_add_co_ci_u32_e32 v17, vcc_lo, v60, v17, vcc_lo
	s_clause 0x4
	global_store_b128 v[0:1], v[4:7], off
	global_store_b128 v[2:3], v[24:27], off
	;; [unrolled: 1-line block ×5, first 2 shown]
.LBB0_20:
	s_nop 0
	s_sendmsg sendmsg(MSG_DEALLOC_VGPRS)
	s_endpgm
	.section	.rodata,"a",@progbits
	.p2align	6, 0x0
	.amdhsa_kernel fft_rtc_fwd_len198_factors_11_2_9_wgs_110_tpt_22_dp_ip_CI_sbrr_dirReg
		.amdhsa_group_segment_fixed_size 0
		.amdhsa_private_segment_fixed_size 0
		.amdhsa_kernarg_size 88
		.amdhsa_user_sgpr_count 2
		.amdhsa_user_sgpr_dispatch_ptr 0
		.amdhsa_user_sgpr_queue_ptr 0
		.amdhsa_user_sgpr_kernarg_segment_ptr 1
		.amdhsa_user_sgpr_dispatch_id 0
		.amdhsa_user_sgpr_private_segment_size 0
		.amdhsa_wavefront_size32 1
		.amdhsa_uses_dynamic_stack 0
		.amdhsa_enable_private_segment 0
		.amdhsa_system_sgpr_workgroup_id_x 1
		.amdhsa_system_sgpr_workgroup_id_y 0
		.amdhsa_system_sgpr_workgroup_id_z 0
		.amdhsa_system_sgpr_workgroup_info 0
		.amdhsa_system_vgpr_workitem_id 0
		.amdhsa_next_free_vgpr 167
		.amdhsa_next_free_sgpr 36
		.amdhsa_reserve_vcc 1
		.amdhsa_float_round_mode_32 0
		.amdhsa_float_round_mode_16_64 0
		.amdhsa_float_denorm_mode_32 3
		.amdhsa_float_denorm_mode_16_64 3
		.amdhsa_fp16_overflow 0
		.amdhsa_workgroup_processor_mode 1
		.amdhsa_memory_ordered 1
		.amdhsa_forward_progress 0
		.amdhsa_round_robin_scheduling 0
		.amdhsa_exception_fp_ieee_invalid_op 0
		.amdhsa_exception_fp_denorm_src 0
		.amdhsa_exception_fp_ieee_div_zero 0
		.amdhsa_exception_fp_ieee_overflow 0
		.amdhsa_exception_fp_ieee_underflow 0
		.amdhsa_exception_fp_ieee_inexact 0
		.amdhsa_exception_int_div_zero 0
	.end_amdhsa_kernel
	.text
.Lfunc_end0:
	.size	fft_rtc_fwd_len198_factors_11_2_9_wgs_110_tpt_22_dp_ip_CI_sbrr_dirReg, .Lfunc_end0-fft_rtc_fwd_len198_factors_11_2_9_wgs_110_tpt_22_dp_ip_CI_sbrr_dirReg
                                        ; -- End function
	.section	.AMDGPU.csdata,"",@progbits
; Kernel info:
; codeLenInByte = 7448
; NumSgprs: 38
; NumVgprs: 167
; ScratchSize: 0
; MemoryBound: 1
; FloatMode: 240
; IeeeMode: 1
; LDSByteSize: 0 bytes/workgroup (compile time only)
; SGPRBlocks: 4
; VGPRBlocks: 20
; NumSGPRsForWavesPerEU: 38
; NumVGPRsForWavesPerEU: 167
; Occupancy: 9
; WaveLimiterHint : 1
; COMPUTE_PGM_RSRC2:SCRATCH_EN: 0
; COMPUTE_PGM_RSRC2:USER_SGPR: 2
; COMPUTE_PGM_RSRC2:TRAP_HANDLER: 0
; COMPUTE_PGM_RSRC2:TGID_X_EN: 1
; COMPUTE_PGM_RSRC2:TGID_Y_EN: 0
; COMPUTE_PGM_RSRC2:TGID_Z_EN: 0
; COMPUTE_PGM_RSRC2:TIDIG_COMP_CNT: 0
	.text
	.p2alignl 7, 3214868480
	.fill 96, 4, 3214868480
	.type	__hip_cuid_d99f4deb75673d59,@object ; @__hip_cuid_d99f4deb75673d59
	.section	.bss,"aw",@nobits
	.globl	__hip_cuid_d99f4deb75673d59
__hip_cuid_d99f4deb75673d59:
	.byte	0                               ; 0x0
	.size	__hip_cuid_d99f4deb75673d59, 1

	.ident	"AMD clang version 19.0.0git (https://github.com/RadeonOpenCompute/llvm-project roc-6.4.0 25133 c7fe45cf4b819c5991fe208aaa96edf142730f1d)"
	.section	".note.GNU-stack","",@progbits
	.addrsig
	.addrsig_sym __hip_cuid_d99f4deb75673d59
	.amdgpu_metadata
---
amdhsa.kernels:
  - .args:
      - .actual_access:  read_only
        .address_space:  global
        .offset:         0
        .size:           8
        .value_kind:     global_buffer
      - .offset:         8
        .size:           8
        .value_kind:     by_value
      - .actual_access:  read_only
        .address_space:  global
        .offset:         16
        .size:           8
        .value_kind:     global_buffer
      - .actual_access:  read_only
        .address_space:  global
        .offset:         24
        .size:           8
        .value_kind:     global_buffer
      - .offset:         32
        .size:           8
        .value_kind:     by_value
      - .actual_access:  read_only
        .address_space:  global
        .offset:         40
        .size:           8
        .value_kind:     global_buffer
      - .actual_access:  read_only
        .address_space:  global
        .offset:         48
        .size:           8
        .value_kind:     global_buffer
      - .offset:         56
        .size:           4
        .value_kind:     by_value
      - .actual_access:  read_only
        .address_space:  global
        .offset:         64
        .size:           8
        .value_kind:     global_buffer
      - .actual_access:  read_only
        .address_space:  global
        .offset:         72
        .size:           8
        .value_kind:     global_buffer
      - .address_space:  global
        .offset:         80
        .size:           8
        .value_kind:     global_buffer
    .group_segment_fixed_size: 0
    .kernarg_segment_align: 8
    .kernarg_segment_size: 88
    .language:       OpenCL C
    .language_version:
      - 2
      - 0
    .max_flat_workgroup_size: 110
    .name:           fft_rtc_fwd_len198_factors_11_2_9_wgs_110_tpt_22_dp_ip_CI_sbrr_dirReg
    .private_segment_fixed_size: 0
    .sgpr_count:     38
    .sgpr_spill_count: 0
    .symbol:         fft_rtc_fwd_len198_factors_11_2_9_wgs_110_tpt_22_dp_ip_CI_sbrr_dirReg.kd
    .uniform_work_group_size: 1
    .uses_dynamic_stack: false
    .vgpr_count:     167
    .vgpr_spill_count: 0
    .wavefront_size: 32
    .workgroup_processor_mode: 1
amdhsa.target:   amdgcn-amd-amdhsa--gfx1201
amdhsa.version:
  - 1
  - 2
...

	.end_amdgpu_metadata
